;; amdgpu-corpus repo=ROCm/rocFFT kind=compiled arch=gfx1030 opt=O3
	.text
	.amdgcn_target "amdgcn-amd-amdhsa--gfx1030"
	.amdhsa_code_object_version 6
	.protected	fft_rtc_fwd_len616_factors_11_7_8_wgs_88_tpt_88_sp_op_CI_CI_sbrr_dirReg ; -- Begin function fft_rtc_fwd_len616_factors_11_7_8_wgs_88_tpt_88_sp_op_CI_CI_sbrr_dirReg
	.globl	fft_rtc_fwd_len616_factors_11_7_8_wgs_88_tpt_88_sp_op_CI_CI_sbrr_dirReg
	.p2align	8
	.type	fft_rtc_fwd_len616_factors_11_7_8_wgs_88_tpt_88_sp_op_CI_CI_sbrr_dirReg,@function
fft_rtc_fwd_len616_factors_11_7_8_wgs_88_tpt_88_sp_op_CI_CI_sbrr_dirReg: ; @fft_rtc_fwd_len616_factors_11_7_8_wgs_88_tpt_88_sp_op_CI_CI_sbrr_dirReg
; %bb.0:
	s_clause 0x2
	s_load_dwordx4 s[16:19], s[4:5], 0x18
	s_load_dwordx4 s[12:15], s[4:5], 0x0
	;; [unrolled: 1-line block ×3, first 2 shown]
	v_mul_u32_u24_e32 v1, 0x2e9, v0
	v_mov_b32_e32 v4, 0
	v_mov_b32_e32 v2, 0
	;; [unrolled: 1-line block ×3, first 2 shown]
	s_waitcnt lgkmcnt(0)
	s_load_dwordx2 s[20:21], s[16:17], 0x0
	s_load_dwordx2 s[2:3], s[18:19], 0x0
	v_cmp_lt_u64_e64 s0, s[14:15], 2
	v_add_nc_u32_sdwa v6, s6, v1 dst_sel:DWORD dst_unused:UNUSED_PAD src0_sel:DWORD src1_sel:WORD_1
	v_mov_b32_e32 v7, v4
	s_and_b32 vcc_lo, exec_lo, s0
	s_cbranch_vccnz .LBB0_8
; %bb.1:
	s_load_dwordx2 s[0:1], s[4:5], 0x10
	v_mov_b32_e32 v2, 0
	v_mov_b32_e32 v3, 0
	s_add_u32 s6, s18, 8
	s_addc_u32 s7, s19, 0
	s_add_u32 s22, s16, 8
	s_addc_u32 s23, s17, 0
	v_mov_b32_e32 v17, v3
	v_mov_b32_e32 v16, v2
	s_mov_b64 s[26:27], 1
	s_waitcnt lgkmcnt(0)
	s_add_u32 s24, s0, 8
	s_addc_u32 s25, s1, 0
.LBB0_2:                                ; =>This Inner Loop Header: Depth=1
	s_load_dwordx2 s[28:29], s[24:25], 0x0
                                        ; implicit-def: $vgpr18_vgpr19
	s_mov_b32 s0, exec_lo
	s_waitcnt lgkmcnt(0)
	v_or_b32_e32 v5, s29, v7
	v_cmpx_ne_u64_e32 0, v[4:5]
	s_xor_b32 s1, exec_lo, s0
	s_cbranch_execz .LBB0_4
; %bb.3:                                ;   in Loop: Header=BB0_2 Depth=1
	v_cvt_f32_u32_e32 v1, s28
	v_cvt_f32_u32_e32 v5, s29
	s_sub_u32 s0, 0, s28
	s_subb_u32 s30, 0, s29
	v_fmac_f32_e32 v1, 0x4f800000, v5
	v_rcp_f32_e32 v1, v1
	v_mul_f32_e32 v1, 0x5f7ffffc, v1
	v_mul_f32_e32 v5, 0x2f800000, v1
	v_trunc_f32_e32 v5, v5
	v_fmac_f32_e32 v1, 0xcf800000, v5
	v_cvt_u32_f32_e32 v5, v5
	v_cvt_u32_f32_e32 v1, v1
	v_mul_lo_u32 v8, s0, v5
	v_mul_hi_u32 v9, s0, v1
	v_mul_lo_u32 v10, s30, v1
	v_add_nc_u32_e32 v8, v9, v8
	v_mul_lo_u32 v9, s0, v1
	v_add_nc_u32_e32 v8, v8, v10
	v_mul_hi_u32 v10, v1, v9
	v_mul_lo_u32 v11, v1, v8
	v_mul_hi_u32 v12, v1, v8
	v_mul_hi_u32 v13, v5, v9
	v_mul_lo_u32 v9, v5, v9
	v_mul_hi_u32 v14, v5, v8
	v_mul_lo_u32 v8, v5, v8
	v_add_co_u32 v10, vcc_lo, v10, v11
	v_add_co_ci_u32_e32 v11, vcc_lo, 0, v12, vcc_lo
	v_add_co_u32 v9, vcc_lo, v10, v9
	v_add_co_ci_u32_e32 v9, vcc_lo, v11, v13, vcc_lo
	v_add_co_ci_u32_e32 v10, vcc_lo, 0, v14, vcc_lo
	v_add_co_u32 v8, vcc_lo, v9, v8
	v_add_co_ci_u32_e32 v9, vcc_lo, 0, v10, vcc_lo
	v_add_co_u32 v1, vcc_lo, v1, v8
	v_add_co_ci_u32_e32 v5, vcc_lo, v5, v9, vcc_lo
	v_mul_hi_u32 v8, s0, v1
	v_mul_lo_u32 v10, s30, v1
	v_mul_lo_u32 v9, s0, v5
	v_add_nc_u32_e32 v8, v8, v9
	v_mul_lo_u32 v9, s0, v1
	v_add_nc_u32_e32 v8, v8, v10
	v_mul_hi_u32 v10, v1, v9
	v_mul_lo_u32 v11, v1, v8
	v_mul_hi_u32 v12, v1, v8
	v_mul_hi_u32 v13, v5, v9
	v_mul_lo_u32 v9, v5, v9
	v_mul_hi_u32 v14, v5, v8
	v_mul_lo_u32 v8, v5, v8
	v_add_co_u32 v10, vcc_lo, v10, v11
	v_add_co_ci_u32_e32 v11, vcc_lo, 0, v12, vcc_lo
	v_add_co_u32 v9, vcc_lo, v10, v9
	v_add_co_ci_u32_e32 v9, vcc_lo, v11, v13, vcc_lo
	v_add_co_ci_u32_e32 v10, vcc_lo, 0, v14, vcc_lo
	v_add_co_u32 v8, vcc_lo, v9, v8
	v_add_co_ci_u32_e32 v9, vcc_lo, 0, v10, vcc_lo
	v_add_co_u32 v1, vcc_lo, v1, v8
	v_add_co_ci_u32_e32 v5, vcc_lo, v5, v9, vcc_lo
	v_mul_hi_u32 v14, v6, v1
	v_mad_u64_u32 v[10:11], null, v7, v1, 0
	v_mad_u64_u32 v[8:9], null, v6, v5, 0
	v_mad_u64_u32 v[12:13], null, v7, v5, 0
	v_add_co_u32 v1, vcc_lo, v14, v8
	v_add_co_ci_u32_e32 v5, vcc_lo, 0, v9, vcc_lo
	v_add_co_u32 v1, vcc_lo, v1, v10
	v_add_co_ci_u32_e32 v1, vcc_lo, v5, v11, vcc_lo
	v_add_co_ci_u32_e32 v5, vcc_lo, 0, v13, vcc_lo
	v_add_co_u32 v1, vcc_lo, v1, v12
	v_add_co_ci_u32_e32 v5, vcc_lo, 0, v5, vcc_lo
	v_mul_lo_u32 v10, s29, v1
	v_mad_u64_u32 v[8:9], null, s28, v1, 0
	v_mul_lo_u32 v11, s28, v5
	v_sub_co_u32 v8, vcc_lo, v6, v8
	v_add3_u32 v9, v9, v11, v10
	v_sub_nc_u32_e32 v10, v7, v9
	v_subrev_co_ci_u32_e64 v10, s0, s29, v10, vcc_lo
	v_add_co_u32 v11, s0, v1, 2
	v_add_co_ci_u32_e64 v12, s0, 0, v5, s0
	v_sub_co_u32 v13, s0, v8, s28
	v_sub_co_ci_u32_e32 v9, vcc_lo, v7, v9, vcc_lo
	v_subrev_co_ci_u32_e64 v10, s0, 0, v10, s0
	v_cmp_le_u32_e32 vcc_lo, s28, v13
	v_cmp_eq_u32_e64 s0, s29, v9
	v_cndmask_b32_e64 v13, 0, -1, vcc_lo
	v_cmp_le_u32_e32 vcc_lo, s29, v10
	v_cndmask_b32_e64 v14, 0, -1, vcc_lo
	v_cmp_le_u32_e32 vcc_lo, s28, v8
	;; [unrolled: 2-line block ×3, first 2 shown]
	v_cndmask_b32_e64 v15, 0, -1, vcc_lo
	v_cmp_eq_u32_e32 vcc_lo, s29, v10
	v_cndmask_b32_e64 v8, v15, v8, s0
	v_cndmask_b32_e32 v10, v14, v13, vcc_lo
	v_add_co_u32 v13, vcc_lo, v1, 1
	v_add_co_ci_u32_e32 v14, vcc_lo, 0, v5, vcc_lo
	v_cmp_ne_u32_e32 vcc_lo, 0, v10
	v_cndmask_b32_e32 v9, v14, v12, vcc_lo
	v_cndmask_b32_e32 v10, v13, v11, vcc_lo
	v_cmp_ne_u32_e32 vcc_lo, 0, v8
	v_cndmask_b32_e32 v19, v5, v9, vcc_lo
	v_cndmask_b32_e32 v18, v1, v10, vcc_lo
.LBB0_4:                                ;   in Loop: Header=BB0_2 Depth=1
	s_andn2_saveexec_b32 s0, s1
	s_cbranch_execz .LBB0_6
; %bb.5:                                ;   in Loop: Header=BB0_2 Depth=1
	v_cvt_f32_u32_e32 v1, s28
	s_sub_i32 s1, 0, s28
	v_mov_b32_e32 v19, v4
	v_rcp_iflag_f32_e32 v1, v1
	v_mul_f32_e32 v1, 0x4f7ffffe, v1
	v_cvt_u32_f32_e32 v1, v1
	v_mul_lo_u32 v5, s1, v1
	v_mul_hi_u32 v5, v1, v5
	v_add_nc_u32_e32 v1, v1, v5
	v_mul_hi_u32 v1, v6, v1
	v_mul_lo_u32 v5, v1, s28
	v_add_nc_u32_e32 v8, 1, v1
	v_sub_nc_u32_e32 v5, v6, v5
	v_subrev_nc_u32_e32 v9, s28, v5
	v_cmp_le_u32_e32 vcc_lo, s28, v5
	v_cndmask_b32_e32 v5, v5, v9, vcc_lo
	v_cndmask_b32_e32 v1, v1, v8, vcc_lo
	v_cmp_le_u32_e32 vcc_lo, s28, v5
	v_add_nc_u32_e32 v8, 1, v1
	v_cndmask_b32_e32 v18, v1, v8, vcc_lo
.LBB0_6:                                ;   in Loop: Header=BB0_2 Depth=1
	s_or_b32 exec_lo, exec_lo, s0
	v_mul_lo_u32 v1, v19, s28
	v_mul_lo_u32 v5, v18, s29
	s_load_dwordx2 s[0:1], s[22:23], 0x0
	v_mad_u64_u32 v[8:9], null, v18, s28, 0
	s_load_dwordx2 s[28:29], s[6:7], 0x0
	s_add_u32 s26, s26, 1
	s_addc_u32 s27, s27, 0
	s_add_u32 s6, s6, 8
	s_addc_u32 s7, s7, 0
	s_add_u32 s22, s22, 8
	v_add3_u32 v1, v9, v5, v1
	v_sub_co_u32 v5, vcc_lo, v6, v8
	s_addc_u32 s23, s23, 0
	s_add_u32 s24, s24, 8
	v_sub_co_ci_u32_e32 v1, vcc_lo, v7, v1, vcc_lo
	s_addc_u32 s25, s25, 0
	s_waitcnt lgkmcnt(0)
	v_mul_lo_u32 v6, s0, v1
	v_mul_lo_u32 v7, s1, v5
	v_mad_u64_u32 v[2:3], null, s0, v5, v[2:3]
	v_mul_lo_u32 v1, s28, v1
	v_mul_lo_u32 v8, s29, v5
	v_mad_u64_u32 v[16:17], null, s28, v5, v[16:17]
	v_cmp_ge_u64_e64 s0, s[26:27], s[14:15]
	v_add3_u32 v3, v7, v3, v6
	v_add3_u32 v17, v8, v17, v1
	s_and_b32 vcc_lo, exec_lo, s0
	s_cbranch_vccnz .LBB0_9
; %bb.7:                                ;   in Loop: Header=BB0_2 Depth=1
	v_mov_b32_e32 v6, v18
	v_mov_b32_e32 v7, v19
	s_branch .LBB0_2
.LBB0_8:
	v_mov_b32_e32 v17, v3
	v_mov_b32_e32 v19, v7
	;; [unrolled: 1-line block ×4, first 2 shown]
.LBB0_9:
	s_load_dwordx2 s[0:1], s[4:5], 0x28
	v_mul_hi_u32 v1, 0x2e8ba2f, v0
	s_lshl_b64 s[6:7], s[14:15], 3
                                        ; implicit-def: $vgpr21
                                        ; implicit-def: $vgpr15
                                        ; implicit-def: $vgpr11
                                        ; implicit-def: $vgpr31
                                        ; implicit-def: $vgpr29
                                        ; implicit-def: $vgpr25
                                        ; implicit-def: $vgpr5
                                        ; implicit-def: $vgpr7
                                        ; implicit-def: $vgpr23
                                        ; implicit-def: $vgpr27
	s_add_u32 s4, s18, s6
	s_addc_u32 s5, s19, s7
	v_mul_u32_u24_e32 v1, 0x58, v1
	v_sub_nc_u32_e32 v32, v0, v1
	v_mov_b32_e32 v1, 0
	v_mov_b32_e32 v0, 0
	s_waitcnt lgkmcnt(0)
	v_cmp_gt_u64_e32 vcc_lo, s[0:1], v[18:19]
	v_cmp_gt_u32_e64 s0, 56, v32
	s_and_b32 s1, vcc_lo, s0
	s_and_saveexec_b32 s14, s1
	s_cbranch_execz .LBB0_11
; %bb.10:
	s_add_u32 s6, s16, s6
	s_addc_u32 s7, s17, s7
	v_add_nc_u32_e32 v14, 56, v32
	s_load_dwordx2 s[6:7], s[6:7], 0x0
	v_add_nc_u32_e32 v15, 0x70, v32
	v_add_nc_u32_e32 v20, 0xa8, v32
	v_mad_u64_u32 v[0:1], null, s20, v32, 0
	v_lshlrev_b64 v[2:3], 3, v[2:3]
	v_mad_u64_u32 v[4:5], null, s20, v14, 0
	v_mad_u64_u32 v[6:7], null, s20, v15, 0
	;; [unrolled: 1-line block ×4, first 2 shown]
	v_mov_b32_e32 v1, v5
	v_add_nc_u32_e32 v21, 0xe0, v32
	v_mov_b32_e32 v5, v7
	v_add_nc_u32_e32 v26, 0x150, v32
	v_mov_b32_e32 v7, v9
	v_mad_u64_u32 v[13:14], null, s21, v14, v[1:2]
	s_waitcnt lgkmcnt(0)
	v_mul_lo_u32 v24, s7, v18
	v_mul_lo_u32 v25, s6, v19
	v_mad_u64_u32 v[10:11], null, s6, v18, 0
	v_mov_b32_e32 v1, v12
	v_mad_u64_u32 v[14:15], null, s21, v15, v[5:6]
	v_mad_u64_u32 v[22:23], null, s20, v21, 0
	v_mov_b32_e32 v5, v13
	v_add3_u32 v11, v11, v25, v24
	v_lshlrev_b64 v[0:1], 3, v[0:1]
	v_mad_u64_u32 v[24:25], null, s20, v26, 0
	v_or_b32_e32 v27, 0x1c0, v32
	v_lshlrev_b64 v[9:10], 3, v[10:11]
	v_mad_u64_u32 v[11:12], null, s21, v20, v[7:8]
	v_mov_b32_e32 v7, v14
	v_add_nc_u32_e32 v14, 0x118, v32
	v_add_nc_u32_e32 v29, 0x1f8, v32
	v_add_co_u32 v9, s1, s8, v9
	v_add_co_ci_u32_e64 v10, s1, s9, v10, s1
	v_mad_u64_u32 v[12:13], null, s20, v14, 0
	v_add_co_u32 v30, s1, v9, v2
	v_mov_b32_e32 v9, v11
	v_add_co_ci_u32_e64 v31, s1, v10, v3, s1
	v_lshlrev_b64 v[2:3], 3, v[4:5]
	v_lshlrev_b64 v[4:5], 3, v[6:7]
	;; [unrolled: 1-line block ×3, first 2 shown]
	v_mov_b32_e32 v6, v23
	v_add_co_u32 v0, s1, v30, v0
	v_add_co_ci_u32_e64 v1, s1, v31, v1, s1
	v_mad_u64_u32 v[9:10], null, s21, v21, v[6:7]
	v_add_co_u32 v2, s1, v30, v2
	v_add_co_ci_u32_e64 v3, s1, v31, v3, s1
	v_add_co_u32 v4, s1, v30, v4
	v_add_co_ci_u32_e64 v5, s1, v31, v5, s1
	v_mov_b32_e32 v6, v13
	v_add_co_u32 v7, s1, v30, v7
	v_mov_b32_e32 v23, v9
	v_add_co_ci_u32_e64 v8, s1, v31, v8, s1
	v_mad_u64_u32 v[9:10], null, s21, v14, v[6:7]
	s_clause 0x3
	global_load_dwordx2 v[0:1], v[0:1], off
	global_load_dwordx2 v[20:21], v[2:3], off
	;; [unrolled: 1-line block ×4, first 2 shown]
	v_lshlrev_b64 v[2:3], 3, v[22:23]
	v_add_nc_u32_e32 v22, 0x188, v32
	v_mov_b32_e32 v4, v25
	v_mov_b32_e32 v13, v9
	v_mad_u64_u32 v[5:6], null, s20, v22, 0
	v_add_co_u32 v2, s1, v30, v2
	v_lshlrev_b64 v[12:13], 3, v[12:13]
	v_add_co_ci_u32_e64 v3, s1, v31, v3, s1
	v_mad_u64_u32 v[7:8], null, s21, v26, v[4:5]
	v_mad_u64_u32 v[8:9], null, s20, v27, 0
	v_mov_b32_e32 v4, v6
	v_add_co_u32 v12, s1, v30, v12
	v_add_co_ci_u32_e64 v13, s1, v31, v13, s1
	v_mov_b32_e32 v25, v7
	v_mad_u64_u32 v[6:7], null, s21, v22, v[4:5]
	v_mov_b32_e32 v4, v9
	v_mad_u64_u32 v[22:23], null, s20, v29, 0
	v_add_nc_u32_e32 v7, 0x230, v32
	v_mad_u64_u32 v[26:27], null, s21, v27, v[4:5]
	v_mad_u64_u32 v[27:28], null, s20, v7, 0
	v_mov_b32_e32 v4, v23
	v_lshlrev_b64 v[23:24], 3, v[24:25]
	v_mov_b32_e32 v9, v26
	v_mad_u64_u32 v[25:26], null, s21, v29, v[4:5]
	v_lshlrev_b64 v[5:6], 3, v[5:6]
	v_mov_b32_e32 v4, v28
	v_add_co_u32 v33, s1, v30, v23
	v_add_co_ci_u32_e64 v34, s1, v31, v24, s1
	v_mad_u64_u32 v[28:29], null, s21, v7, v[4:5]
	v_lshlrev_b64 v[7:8], 3, v[8:9]
	v_mov_b32_e32 v23, v25
	v_add_co_u32 v4, s1, v30, v5
	v_add_co_ci_u32_e64 v5, s1, v31, v6, s1
	v_lshlrev_b64 v[22:23], 3, v[22:23]
	v_add_co_u32 v6, s1, v30, v7
	v_add_co_ci_u32_e64 v7, s1, v31, v8, s1
	v_lshlrev_b64 v[8:9], 3, v[27:28]
	v_add_co_u32 v35, s1, v30, v22
	v_add_co_ci_u32_e64 v36, s1, v31, v23, s1
	v_add_co_u32 v8, s1, v30, v8
	v_add_co_ci_u32_e64 v9, s1, v31, v9, s1
	s_clause 0x6
	global_load_dwordx2 v[30:31], v[2:3], off
	global_load_dwordx2 v[28:29], v[12:13], off
	;; [unrolled: 1-line block ×7, first 2 shown]
.LBB0_11:
	s_or_b32 exec_lo, exec_lo, s14
	s_waitcnt vmcnt(0)
	v_add_f32_e32 v43, v20, v4
	v_sub_f32_e32 v49, v20, v4
	v_add_f32_e32 v36, v21, v5
	v_sub_f32_e32 v33, v21, v5
	v_add_f32_e32 v44, v14, v6
	v_mul_f32_e32 v12, 0xbf27a4f4, v43
	v_mul_f32_e32 v54, 0xbf4178ce, v49
	v_sub_f32_e32 v46, v14, v6
	v_sub_f32_e32 v34, v15, v7
	v_mul_f32_e32 v13, 0xbe11bafb, v44
	v_fmamk_f32 v2, v33, 0xbf4178ce, v12
	v_fma_f32 v3, 0xbf27a4f4, v36, -v54
	v_add_f32_e32 v35, v15, v7
	v_mul_f32_e32 v56, 0x3f7d64f0, v46
	v_add_f32_e32 v47, v10, v22
	v_sub_f32_e32 v50, v10, v22
	v_add_f32_e32 v2, v0, v2
	v_add_f32_e32 v3, v1, v3
	v_fmamk_f32 v8, v34, 0x3f7d64f0, v13
	v_fma_f32 v9, 0xbe11bafb, v35, -v56
	v_add_f32_e32 v38, v11, v23
	v_sub_f32_e32 v37, v11, v23
	v_mul_f32_e32 v57, 0x3f575c64, v47
	v_mul_f32_e32 v60, 0xbf0a6770, v50
	v_add_f32_e32 v51, v30, v26
	v_sub_f32_e32 v52, v30, v26
	v_add_f32_e32 v2, v2, v8
	v_add_f32_e32 v3, v3, v9
	v_fmamk_f32 v8, v37, 0xbf0a6770, v57
	v_fma_f32 v9, 0x3f575c64, v38, -v60
	v_sub_f32_e32 v39, v31, v27
	v_mul_f32_e32 v55, 0xbf75a155, v51
	v_add_f32_e32 v40, v31, v27
	v_mul_f32_e32 v59, 0xbe903f40, v52
	v_add_f32_e32 v45, v28, v24
	v_sub_f32_e32 v48, v28, v24
	v_add_f32_e32 v2, v2, v8
	v_add_f32_e32 v3, v3, v9
	v_fmamk_f32 v8, v39, 0xbe903f40, v55
	v_fma_f32 v9, 0xbf75a155, v40, -v59
	v_add_f32_e32 v42, v29, v25
	v_sub_f32_e32 v41, v29, v25
	v_mul_f32_e32 v53, 0x3ed4b147, v45
	v_mul_f32_e32 v58, 0x3f68dda4, v48
	v_add_f32_e32 v2, v2, v8
	v_add_f32_e32 v3, v3, v9
	v_fmamk_f32 v8, v41, 0x3f68dda4, v53
	v_fma_f32 v9, 0x3ed4b147, v42, -v58
	v_add_f32_e32 v2, v8, v2
	v_add_f32_e32 v3, v9, v3
	s_and_saveexec_b32 s1, s0
	s_cbranch_execz .LBB0_13
; %bb.12:
	v_mul_f32_e32 v8, 0xbe903f40, v49
	v_mul_f32_e32 v61, 0xbe903f40, v33
	v_mul_f32_e32 v9, 0x3f0a6770, v46
	v_mul_f32_e32 v62, 0x3f0a6770, v34
	v_mul_f32_e32 v63, 0xbf4178ce, v50
	v_fma_f32 v64, 0xbf75a155, v36, -v8
	v_fmamk_f32 v66, v43, 0xbf75a155, v61
	v_mul_f32_e32 v65, 0xbf4178ce, v37
	v_fma_f32 v68, 0x3f575c64, v35, -v9
	v_fmamk_f32 v69, v44, 0x3f575c64, v62
	v_add_f32_e32 v64, v1, v64
	v_add_f32_e32 v66, v0, v66
	v_fmac_f32_e32 v8, 0xbf75a155, v36
	v_mul_f32_e32 v67, 0x3f68dda4, v52
	v_fma_f32 v71, 0xbf27a4f4, v38, -v63
	v_add_f32_e32 v64, v64, v68
	v_fmamk_f32 v68, v47, 0xbf27a4f4, v65
	v_add_f32_e32 v66, v66, v69
	v_fma_f32 v61, 0xbf75a155, v43, -v61
	v_add_f32_e32 v8, v1, v8
	v_fmac_f32_e32 v9, 0x3f575c64, v35
	v_mul_f32_e32 v70, 0x3f68dda4, v39
	v_fma_f32 v69, 0x3ed4b147, v40, -v67
	v_add_f32_e32 v64, v64, v71
	v_add_f32_e32 v66, v66, v68
	;; [unrolled: 1-line block ×3, first 2 shown]
	v_fma_f32 v62, 0x3f575c64, v44, -v62
	v_mul_f32_e32 v68, 0xbf7d64f0, v48
	v_add_f32_e32 v8, v8, v9
	v_fmac_f32_e32 v63, 0xbf27a4f4, v38
	v_fmamk_f32 v72, v51, 0x3ed4b147, v70
	v_add_f32_e32 v64, v64, v69
	v_mul_f32_e32 v69, 0xbf7d64f0, v41
	v_add_f32_e32 v9, v61, v62
	v_fma_f32 v61, 0xbf27a4f4, v47, -v65
	v_fma_f32 v62, 0xbe11bafb, v42, -v68
	v_add_f32_e32 v63, v8, v63
	v_fmac_f32_e32 v67, 0x3ed4b147, v40
	v_add_f32_e32 v66, v66, v72
	v_fmamk_f32 v65, v45, 0xbe11bafb, v69
	v_add_f32_e32 v61, v9, v61
	v_add_f32_e32 v9, v62, v64
	;; [unrolled: 1-line block ×3, first 2 shown]
	v_mul_f32_e32 v63, 0xbf27a4f4, v36
	v_add_f32_e32 v8, v65, v66
	v_mul_f32_e32 v64, 0xbf4178ce, v33
	v_mul_f32_e32 v65, 0xbe11bafb, v35
	;; [unrolled: 1-line block ×3, first 2 shown]
	v_add_f32_e32 v54, v63, v54
	v_fmac_f32_e32 v68, 0xbe11bafb, v42
	v_sub_f32_e32 v12, v12, v64
	v_add_f32_e32 v56, v65, v56
	v_mul_f32_e32 v64, 0x3f575c64, v38
	v_add_f32_e32 v54, v1, v54
	v_sub_f32_e32 v13, v13, v66
	v_add_f32_e32 v12, v0, v12
	v_mul_f32_e32 v65, 0xbf0a6770, v37
	v_fma_f32 v70, 0x3ed4b147, v51, -v70
	v_add_f32_e32 v54, v54, v56
	v_add_f32_e32 v56, v64, v60
	v_mul_f32_e32 v60, 0xbf75a155, v40
	v_add_f32_e32 v12, v12, v13
	v_sub_f32_e32 v57, v57, v65
	v_add_f32_e32 v13, v68, v62
	v_mul_f32_e32 v62, 0xbe903f40, v39
	v_add_f32_e32 v54, v54, v56
	v_add_f32_e32 v56, v60, v59
	v_mul_f32_e32 v59, 0x3ed4b147, v42
	v_add_f32_e32 v57, v12, v57
	v_sub_f32_e32 v55, v55, v62
	v_mul_f32_e32 v60, 0x3f68dda4, v41
	v_add_f32_e32 v54, v54, v56
	v_add_f32_e32 v56, v59, v58
	;; [unrolled: 1-line block ×4, first 2 shown]
	v_mul_f32_e32 v57, 0xbf7d64f0, v49
	v_sub_f32_e32 v53, v53, v60
	v_add_f32_e32 v21, v56, v54
	v_add_f32_e32 v54, v0, v20
	;; [unrolled: 1-line block ×3, first 2 shown]
	v_fmamk_f32 v56, v36, 0xbe11bafb, v57
	v_mul_f32_e32 v59, 0x3e903f40, v46
	v_add_f32_e32 v20, v53, v55
	v_add_f32_e32 v14, v54, v14
	;; [unrolled: 1-line block ×4, first 2 shown]
	v_fmamk_f32 v54, v35, 0xbf75a155, v59
	v_mul_f32_e32 v15, 0x3f68dda4, v50
	v_mul_f32_e32 v55, 0xbe11bafb, v43
	v_add_f32_e32 v10, v14, v10
	v_add_f32_e32 v11, v11, v31
	;; [unrolled: 1-line block ×3, first 2 shown]
	v_fmamk_f32 v31, v38, 0x3ed4b147, v15
	v_fmamk_f32 v53, v33, 0x3f7d64f0, v55
	v_mul_f32_e32 v54, 0xbf75a155, v44
	v_add_f32_e32 v10, v10, v30
	v_mul_f32_e32 v30, 0xbf0a6770, v52
	v_add_f32_e32 v11, v11, v29
	v_add_f32_e32 v14, v14, v31
	v_add_f32_e32 v31, v0, v53
	v_fmamk_f32 v53, v34, 0xbe903f40, v54
	v_mul_f32_e32 v56, 0x3ed4b147, v47
	v_fmamk_f32 v29, v40, 0x3f575c64, v30
	v_add_f32_e32 v10, v10, v28
	v_add_f32_e32 v11, v11, v25
	v_mul_f32_e32 v25, 0xbf4178ce, v48
	v_add_f32_e32 v28, v31, v53
	v_fmamk_f32 v31, v37, 0xbf68dda4, v56
	v_mul_f32_e32 v53, 0x3f575c64, v51
	v_add_f32_e32 v14, v14, v29
	v_add_f32_e32 v10, v10, v24
	v_fmamk_f32 v24, v42, 0xbf27a4f4, v25
	v_add_f32_e32 v27, v11, v27
	v_add_f32_e32 v28, v28, v31
	v_fmamk_f32 v29, v39, 0x3f0a6770, v53
	v_mul_f32_e32 v31, 0xbf27a4f4, v45
	v_add_f32_e32 v26, v10, v26
	v_add_f32_e32 v11, v24, v14
	v_mul_f32_e32 v14, 0xbf68dda4, v49
	v_add_f32_e32 v23, v23, v27
	v_add_f32_e32 v28, v28, v29
	v_fmamk_f32 v29, v41, 0x3f4178ce, v31
	v_add_f32_e32 v22, v22, v26
	v_mul_f32_e32 v24, 0x3ed4b147, v43
	v_fmamk_f32 v26, v36, 0x3ed4b147, v14
	v_add_f32_e32 v7, v7, v23
	v_mul_f32_e32 v23, 0xbf4178ce, v46
	v_add_f32_e32 v61, v61, v70
	v_fma_f32 v63, 0xbe11bafb, v45, -v69
	v_add_f32_e32 v10, v29, v28
	v_add_f32_e32 v6, v6, v22
	v_fmamk_f32 v22, v33, 0x3f68dda4, v24
	v_mul_f32_e32 v27, 0xbf27a4f4, v44
	v_add_f32_e32 v26, v1, v26
	v_fmamk_f32 v28, v35, 0xbf27a4f4, v23
	v_mul_f32_e32 v29, 0x3e903f40, v50
	v_add_f32_e32 v12, v63, v61
	v_add_f32_e32 v22, v0, v22
	v_fmamk_f32 v58, v34, 0x3f4178ce, v27
	v_mul_f32_e32 v60, 0xbf75a155, v47
	v_add_f32_e32 v26, v26, v28
	v_fmamk_f32 v28, v38, 0xbf75a155, v29
	v_mul_f32_e32 v61, 0x3f7d64f0, v52
	;; [unrolled: 3-line block ×3, first 2 shown]
	v_add_f32_e32 v5, v5, v7
	v_add_f32_e32 v7, v26, v28
	v_fmamk_f32 v26, v40, 0xbe11bafb, v61
	v_add_f32_e32 v22, v22, v58
	v_fmamk_f32 v28, v39, 0xbf7d64f0, v62
	v_add_f32_e32 v4, v4, v6
	v_mul_f32_e32 v49, 0xbf0a6770, v49
	v_add_f32_e32 v6, v7, v26
	v_mul_f32_e32 v26, 0x3f575c64, v43
	v_mul_f32_e32 v58, 0x3f0a6770, v48
	v_add_f32_e32 v22, v22, v28
	v_fmamk_f32 v28, v36, 0x3f575c64, v49
	v_mul_f32_e32 v43, 0xbf68dda4, v46
	v_mul_f32_e32 v46, 0x3f575c64, v45
	v_fmamk_f32 v63, v33, 0x3f0a6770, v26
	v_mul_f32_e32 v44, 0x3ed4b147, v44
	v_fmamk_f32 v7, v42, 0x3f575c64, v58
	v_add_f32_e32 v28, v1, v28
	v_fmamk_f32 v64, v35, 0x3ed4b147, v43
	v_mul_f32_e32 v50, 0xbf7d64f0, v50
	v_add_f32_e32 v63, v0, v63
	v_fmamk_f32 v65, v34, 0x3f68dda4, v44
	v_mul_f32_e32 v47, 0xbe11bafb, v47
	v_fmamk_f32 v66, v41, 0xbf0a6770, v46
	v_add_f32_e32 v28, v28, v64
	v_fmamk_f32 v64, v38, 0xbe11bafb, v50
	v_mul_f32_e32 v52, 0xbf4178ce, v52
	v_add_f32_e32 v63, v63, v65
	v_fmamk_f32 v65, v37, 0x3f7d64f0, v47
	v_mul_f32_e32 v51, 0xbf27a4f4, v51
	v_add_f32_e32 v7, v7, v6
	v_add_f32_e32 v6, v66, v22
	v_fma_f32 v22, 0xbe11bafb, v36, -v57
	v_fmac_f32_e32 v55, 0xbf7d64f0, v33
	v_add_f32_e32 v28, v28, v64
	v_fmamk_f32 v64, v40, 0xbf27a4f4, v52
	v_add_f32_e32 v63, v63, v65
	v_fmamk_f32 v65, v39, 0x3f4178ce, v51
	v_mul_f32_e32 v48, 0xbe903f40, v48
	v_add_f32_e32 v22, v1, v22
	v_fma_f32 v59, 0xbf75a155, v35, -v59
	v_add_f32_e32 v55, v0, v55
	v_fmac_f32_e32 v54, 0x3e903f40, v34
	v_add_f32_e32 v28, v28, v64
	v_add_f32_e32 v57, v63, v65
	v_fmamk_f32 v63, v42, 0xbf75a155, v48
	v_add_f32_e32 v22, v22, v59
	v_fma_f32 v59, 0x3ed4b147, v38, -v15
	v_fma_f32 v14, 0x3ed4b147, v36, -v14
	v_add_f32_e32 v54, v55, v54
	v_fmac_f32_e32 v56, 0x3f68dda4, v37
	v_add_f32_e32 v15, v63, v28
	v_add_f32_e32 v22, v22, v59
	;; [unrolled: 1-line block ×3, first 2 shown]
	v_fma_f32 v23, 0xbf27a4f4, v35, -v23
	v_add_f32_e32 v28, v54, v56
	v_fma_f32 v30, 0x3f575c64, v40, -v30
	v_fmac_f32_e32 v53, 0xbf0a6770, v39
	v_fma_f32 v25, 0xbf27a4f4, v42, -v25
	v_add_f32_e32 v14, v14, v23
	v_fma_f32 v23, 0xbf75a155, v38, -v29
	v_add_f32_e32 v22, v22, v30
	v_add_f32_e32 v28, v28, v53
	v_fmac_f32_e32 v31, 0xbf4178ce, v41
	v_fmac_f32_e32 v24, 0xbf68dda4, v33
	v_add_f32_e32 v29, v14, v23
	v_add_f32_e32 v23, v25, v22
	v_fmac_f32_e32 v26, 0xbf0a6770, v33
	v_add_f32_e32 v22, v31, v28
	v_fma_f32 v28, 0x3f575c64, v36, -v49
	v_add_f32_e32 v24, v0, v24
	v_fmac_f32_e32 v27, 0xbf4178ce, v34
	v_add_f32_e32 v0, v0, v26
	v_fmac_f32_e32 v44, 0xbf68dda4, v34
	v_add_f32_e32 v1, v1, v28
	v_fma_f32 v28, 0x3ed4b147, v35, -v43
	v_add_f32_e32 v24, v24, v27
	v_fmac_f32_e32 v60, 0x3e903f40, v37
	v_mul_f32_e32 v45, 0xbf75a155, v45
	v_fma_f32 v26, 0xbe11bafb, v38, -v50
	v_add_f32_e32 v1, v1, v28
	v_add_f32_e32 v0, v0, v44
	v_fmac_f32_e32 v47, 0xbf7d64f0, v37
	v_fma_f32 v30, 0xbe11bafb, v40, -v61
	v_add_f32_e32 v24, v24, v60
	v_fmac_f32_e32 v62, 0x3f7d64f0, v39
	v_fmamk_f32 v54, v41, 0x3e903f40, v45
	v_add_f32_e32 v1, v1, v26
	v_fma_f32 v26, 0xbf27a4f4, v40, -v52
	v_add_f32_e32 v0, v0, v47
	v_fmac_f32_e32 v51, 0xbf4178ce, v39
	v_add_f32_e32 v25, v29, v30
	v_fma_f32 v29, 0x3f575c64, v42, -v58
	v_add_f32_e32 v24, v24, v62
	v_fmac_f32_e32 v46, 0x3f0a6770, v41
	v_add_f32_e32 v14, v54, v57
	v_add_f32_e32 v26, v1, v26
	v_fma_f32 v27, 0xbf75a155, v42, -v48
	v_add_f32_e32 v28, v0, v51
	v_fmac_f32_e32 v45, 0xbe903f40, v41
	v_mad_u32_u24 v30, 0x58, v32, 0
	v_add_f32_e32 v1, v29, v25
	v_add_f32_e32 v0, v46, v24
	;; [unrolled: 1-line block ×4, first 2 shown]
	ds_write2_b64 v30, v[4:5], v[14:15] offset1:1
	ds_write2_b64 v30, v[6:7], v[10:11] offset0:2 offset1:3
	ds_write2_b64 v30, v[20:21], v[12:13] offset0:4 offset1:5
	;; [unrolled: 1-line block ×4, first 2 shown]
	ds_write_b64 v30, v[24:25] offset:80
.LBB0_13:
	s_or_b32 exec_lo, exec_lo, s1
	v_and_b32_e32 v0, 0xff, v32
	s_load_dwordx2 s[4:5], s[4:5], 0x0
	s_waitcnt lgkmcnt(0)
	s_barrier
	buffer_gl0_inv
	v_mul_lo_u16 v0, 0x75, v0
	v_lshl_add_u32 v20, v32, 3, 0
	v_mov_b32_e32 v37, 0x268
	v_mov_b32_e32 v38, 3
	v_cmp_gt_u32_e64 s0, 0x4d, v32
	v_lshrrev_b16 v0, 8, v0
	v_add_nc_u32_e32 v21, 0x800, v20
	v_sub_nc_u16 v1, v32, v0
	v_lshrrev_b16 v1, 1, v1
	v_and_b32_e32 v1, 0x7f, v1
	v_add_nc_u16 v0, v1, v0
	v_mov_b32_e32 v1, 6
	v_lshrrev_b16 v30, 3, v0
	v_mul_lo_u16 v0, v30, 11
	v_mul_u32_u24_sdwa v30, v30, v37 dst_sel:DWORD dst_unused:UNUSED_PAD src0_sel:WORD_0 src1_sel:DWORD
	v_sub_nc_u16 v31, v32, v0
	v_mul_u32_u24_sdwa v0, v31, v1 dst_sel:DWORD dst_unused:UNUSED_PAD src0_sel:BYTE_0 src1_sel:DWORD
	v_lshlrev_b32_sdwa v31, v38, v31 dst_sel:DWORD dst_unused:UNUSED_PAD src0_sel:DWORD src1_sel:BYTE_0
	v_lshlrev_b32_e32 v0, 3, v0
	v_add3_u32 v30, 0, v30, v31
	s_clause 0x2
	global_load_dwordx4 v[4:7], v0, s[12:13]
	global_load_dwordx4 v[8:11], v0, s[12:13] offset:16
	global_load_dwordx4 v[12:15], v0, s[12:13] offset:32
	v_add_nc_u32_e32 v0, 0x400, v20
	ds_read2_b64 v[22:25], v20 offset1:88
	ds_read2_b64 v[33:36], v21 offset0:96 offset1:184
	ds_read2_b64 v[26:29], v0 offset0:48 offset1:136
	ds_read_b64 v[0:1], v20 offset:4224
	s_waitcnt vmcnt(0) lgkmcnt(0)
	s_barrier
	buffer_gl0_inv
	v_mul_f32_e32 v31, v5, v25
	v_mul_f32_e32 v5, v5, v24
	;; [unrolled: 1-line block ×12, first 2 shown]
	v_fma_f32 v24, v4, v24, -v31
	v_fmac_f32_e32 v5, v4, v25
	v_fma_f32 v4, v6, v26, -v37
	v_fmac_f32_e32 v7, v6, v27
	;; [unrolled: 2-line block ×6, first 2 shown]
	v_add_f32_e32 v10, v24, v0
	v_add_f32_e32 v12, v5, v15
	v_sub_f32_e32 v5, v5, v15
	v_add_f32_e32 v14, v4, v1
	v_add_f32_e32 v15, v7, v13
	v_sub_f32_e32 v0, v24, v0
	v_sub_f32_e32 v1, v4, v1
	;; [unrolled: 1-line block ×3, first 2 shown]
	v_add_f32_e32 v7, v6, v8
	v_add_f32_e32 v13, v9, v11
	v_sub_f32_e32 v6, v8, v6
	v_sub_f32_e32 v8, v11, v9
	v_add_f32_e32 v9, v14, v10
	v_add_f32_e32 v11, v15, v12
	v_sub_f32_e32 v24, v14, v10
	v_sub_f32_e32 v25, v15, v12
	;; [unrolled: 1-line block ×6, first 2 shown]
	v_add_f32_e32 v26, v6, v1
	v_add_f32_e32 v27, v8, v4
	v_sub_f32_e32 v28, v6, v1
	v_sub_f32_e32 v29, v8, v4
	;; [unrolled: 1-line block ×4, first 2 shown]
	v_add_f32_e32 v7, v7, v9
	v_add_f32_e32 v9, v13, v11
	v_sub_f32_e32 v6, v0, v6
	v_sub_f32_e32 v8, v5, v8
	v_add_f32_e32 v0, v26, v0
	v_add_f32_e32 v11, v27, v5
	v_mul_f32_e32 v10, 0x3f4a47b2, v10
	v_mul_f32_e32 v12, 0x3f4a47b2, v12
	;; [unrolled: 1-line block ×8, first 2 shown]
	v_add_f32_e32 v4, v7, v22
	v_add_f32_e32 v5, v9, v23
	v_fmamk_f32 v14, v14, 0x3d64c772, v10
	v_fmamk_f32 v15, v15, 0x3d64c772, v12
	v_fma_f32 v13, 0x3f3bfb3b, v24, -v13
	v_fma_f32 v22, 0x3f3bfb3b, v25, -v26
	;; [unrolled: 1-line block ×4, first 2 shown]
	v_fmamk_f32 v23, v6, 0x3eae86e6, v27
	v_fmamk_f32 v24, v8, 0x3eae86e6, v28
	v_fma_f32 v1, 0x3f5ff5aa, v1, -v27
	v_fma_f32 v25, 0x3f5ff5aa, v31, -v28
	;; [unrolled: 1-line block ×4, first 2 shown]
	v_fmamk_f32 v6, v7, 0xbf955555, v4
	v_fmamk_f32 v7, v9, 0xbf955555, v5
	v_fmac_f32_e32 v23, 0x3ee1c552, v0
	v_fmac_f32_e32 v24, 0x3ee1c552, v11
	;; [unrolled: 1-line block ×6, first 2 shown]
	v_add_f32_e32 v0, v14, v6
	v_add_f32_e32 v28, v15, v7
	;; [unrolled: 1-line block ×7, first 2 shown]
	v_sub_f32_e32 v7, v28, v23
	v_add_f32_e32 v8, v27, v14
	v_sub_f32_e32 v9, v15, v26
	v_sub_f32_e32 v10, v13, v25
	v_add_f32_e32 v11, v1, v22
	v_add_f32_e32 v12, v25, v13
	v_sub_f32_e32 v13, v22, v1
	v_sub_f32_e32 v14, v14, v27
	v_add_f32_e32 v15, v26, v15
	v_sub_f32_e32 v0, v0, v24
	v_add_f32_e32 v1, v23, v28
	ds_write2_b64 v30, v[4:5], v[6:7] offset1:11
	ds_write2_b64 v30, v[8:9], v[10:11] offset0:22 offset1:33
	ds_write2_b64 v30, v[12:13], v[14:15] offset0:44 offset1:55
	ds_write_b64 v30, v[0:1] offset:528
	s_waitcnt lgkmcnt(0)
	s_barrier
	buffer_gl0_inv
	s_and_saveexec_b32 s1, s0
	s_cbranch_execnz .LBB0_16
; %bb.14:
	s_or_b32 exec_lo, exec_lo, s1
	s_and_b32 s0, vcc_lo, s0
	s_and_saveexec_b32 s1, s0
	s_cbranch_execnz .LBB0_17
.LBB0_15:
	s_endpgm
.LBB0_16:
	v_add_nc_u32_e32 v0, 0xc00, v20
	ds_read2_b64 v[4:7], v20 offset1:77
	ds_read2_b64 v[8:11], v20 offset0:154 offset1:231
	ds_read2_b64 v[12:15], v21 offset0:52 offset1:129
	;; [unrolled: 1-line block ×3, first 2 shown]
	s_or_b32 exec_lo, exec_lo, s1
	s_and_b32 s0, vcc_lo, s0
	s_and_saveexec_b32 s1, s0
	s_cbranch_execz .LBB0_15
.LBB0_17:
	v_mul_u32_u24_e32 v20, 7, v32
	v_add_nc_u32_e32 v53, 0x4d, v32
	v_add_nc_u32_e32 v54, 0x9a, v32
	;; [unrolled: 1-line block ×3, first 2 shown]
	v_mul_lo_u32 v49, s5, v18
	v_lshlrev_b32_e32 v33, 3, v20
	v_mul_lo_u32 v50, s4, v19
	v_mad_u64_u32 v[18:19], null, s4, v18, 0
	v_add_nc_u32_e32 v56, 0x134, v32
	s_clause 0x3
	global_load_dwordx4 v[20:23], v33, s[12:13] offset:528
	global_load_dwordx4 v[24:27], v33, s[12:13] offset:560
	;; [unrolled: 1-line block ×3, first 2 shown]
	global_load_dwordx2 v[33:34], v33, s[12:13] offset:576
	v_add_nc_u32_e32 v57, 0x181, v32
	v_mad_u64_u32 v[35:36], null, s2, v32, 0
	v_add_nc_u32_e32 v58, 0x1ce, v32
	v_mad_u64_u32 v[37:38], null, s2, v53, 0
	;; [unrolled: 2-line block ×3, first 2 shown]
	v_mad_u64_u32 v[41:42], null, s2, v55, 0
	v_mad_u64_u32 v[43:44], null, s2, v56, 0
	;; [unrolled: 1-line block ×4, first 2 shown]
	v_add3_u32 v19, v19, v50, v49
	v_mad_u64_u32 v[49:50], null, s2, v59, 0
	v_mad_u64_u32 v[51:52], null, s3, v32, v[36:37]
	v_mov_b32_e32 v32, v38
	v_mov_b32_e32 v36, v40
	;; [unrolled: 1-line block ×7, first 2 shown]
	v_lshlrev_b64 v[18:19], 3, v[18:19]
	v_lshlrev_b64 v[16:17], 3, v[16:17]
	v_add_co_u32 v18, vcc_lo, s10, v18
	v_add_co_ci_u32_e32 v19, vcc_lo, s11, v19, vcc_lo
	s_waitcnt vmcnt(0)
	v_mad_u64_u32 v[52:53], null, s3, v53, v[32:33]
	v_mad_u64_u32 v[53:54], null, s3, v54, v[36:37]
	v_mad_u64_u32 v[54:55], null, s3, v55, v[38:39]
	v_mad_u64_u32 v[55:56], null, s3, v56, v[40:41]
	v_mad_u64_u32 v[56:57], null, s3, v57, v[42:43]
	v_mad_u64_u32 v[57:58], null, s3, v58, v[44:45]
	v_mad_u64_u32 v[58:59], null, s3, v59, v[46:47]
	v_mov_b32_e32 v36, v51
	v_mov_b32_e32 v38, v52
	;; [unrolled: 1-line block ×8, first 2 shown]
	v_add_co_u32 v32, vcc_lo, v18, v16
	v_add_co_ci_u32_e32 v51, vcc_lo, v19, v17, vcc_lo
	v_lshlrev_b64 v[16:17], 3, v[35:36]
	v_lshlrev_b64 v[18:19], 3, v[37:38]
	;; [unrolled: 1-line block ×8, first 2 shown]
	s_waitcnt lgkmcnt(2)
	v_mul_f32_e32 v47, v9, v23
	s_waitcnt lgkmcnt(0)
	v_mul_f32_e32 v48, v1, v27
	v_mul_f32_e32 v49, v13, v30
	;; [unrolled: 1-line block ×13, first 2 shown]
	v_fma_f32 v8, v8, v22, -v47
	v_fma_f32 v0, v0, v26, -v48
	v_fmac_f32_e32 v49, v12, v31
	v_fma_f32 v6, v6, v20, -v50
	v_fma_f32 v14, v14, v24, -v52
	v_fmac_f32_e32 v53, v10, v29
	v_fmac_f32_e32 v54, v2, v34
	v_fma_f32 v10, v10, v28, -v11
	v_fma_f32 v2, v2, v33, -v3
	v_fmac_f32_e32 v21, v7, v20
	v_fmac_f32_e32 v25, v15, v24
	v_fma_f32 v3, v12, v30, -v13
	v_fmac_f32_e32 v23, v9, v22
	v_fmac_f32_e32 v27, v1, v26
	v_sub_f32_e32 v7, v8, v0
	v_sub_f32_e32 v9, v5, v49
	;; [unrolled: 1-line block ×8, first 2 shown]
	v_add_f32_e32 v15, v7, v9
	v_sub_f32_e32 v20, v11, v12
	v_add_f32_e32 v22, v13, v2
	v_fma_f32 v25, v5, 2.0, -v9
	v_sub_f32_e32 v24, v14, v3
	v_fma_f32 v5, v23, 2.0, -v3
	v_fma_f32 v23, v6, 2.0, -v11
	v_fma_f32 v6, v10, 2.0, -v2
	v_fma_f32 v10, v4, 2.0, -v14
	v_fma_f32 v4, v8, 2.0, -v7
	v_fma_f32 v8, v21, 2.0, -v13
	v_fma_f32 v7, v53, 2.0, -v12
	v_add_co_u32 v16, vcc_lo, v32, v16
	v_add_co_ci_u32_e32 v17, vcc_lo, v51, v17, vcc_lo
	v_add_co_u32 v18, vcc_lo, v32, v18
	v_fmamk_f32 v3, v22, 0x3f3504f3, v15
	v_fmamk_f32 v2, v20, 0x3f3504f3, v24
	v_sub_f32_e32 v12, v25, v5
	v_sub_f32_e32 v21, v23, v6
	;; [unrolled: 1-line block ×4, first 2 shown]
	v_fma_f32 v29, v11, 2.0, -v20
	v_fma_f32 v14, v14, 2.0, -v24
	;; [unrolled: 1-line block ×4, first 2 shown]
	v_add_co_ci_u32_e32 v19, vcc_lo, v51, v19, vcc_lo
	v_add_co_u32 v35, vcc_lo, v32, v35
	v_add_co_ci_u32_e32 v36, vcc_lo, v51, v36, vcc_lo
	v_fmac_f32_e32 v3, 0x3f3504f3, v20
	v_fmac_f32_e32 v2, 0xbf3504f3, v22
	v_add_f32_e32 v5, v12, v21
	v_fmamk_f32 v6, v29, 0xbf3504f3, v14
	v_fma_f32 v20, v25, 2.0, -v12
	v_fma_f32 v22, v8, 2.0, -v27
	;; [unrolled: 1-line block ×4, first 2 shown]
	v_add_co_u32 v37, vcc_lo, v32, v37
	v_fmamk_f32 v7, v13, 0xbf3504f3, v28
	v_add_co_ci_u32_e32 v38, vcc_lo, v51, v38, vcc_lo
	v_add_co_u32 v39, vcc_lo, v32, v39
	v_fma_f32 v11, v12, 2.0, -v5
	v_fmac_f32_e32 v6, 0xbf3504f3, v13
	v_sub_f32_e32 v13, v20, v22
	v_sub_f32_e32 v12, v25, v10
	v_add_co_ci_u32_e32 v40, vcc_lo, v51, v40, vcc_lo
	v_fmac_f32_e32 v7, 0x3f3504f3, v29
	v_add_co_u32 v41, vcc_lo, v32, v41
	v_sub_f32_e32 v4, v26, v27
	v_add_co_ci_u32_e32 v42, vcc_lo, v51, v42, vcc_lo
	v_add_co_u32 v0, vcc_lo, v32, v43
	v_fma_f32 v21, v20, 2.0, -v13
	v_fma_f32 v20, v25, 2.0, -v12
	;; [unrolled: 1-line block ×5, first 2 shown]
	v_add_co_ci_u32_e32 v1, vcc_lo, v51, v44, vcc_lo
	v_fma_f32 v10, v26, 2.0, -v4
	v_fma_f32 v8, v24, 2.0, -v2
	v_add_co_u32 v22, vcc_lo, v32, v45
	v_add_co_ci_u32_e32 v23, vcc_lo, v51, v46, vcc_lo
	global_store_dwordx2 v[16:17], v[20:21], off
	global_store_dwordx2 v[18:19], v[14:15], off
	;; [unrolled: 1-line block ×8, first 2 shown]
	s_endpgm
	.section	.rodata,"a",@progbits
	.p2align	6, 0x0
	.amdhsa_kernel fft_rtc_fwd_len616_factors_11_7_8_wgs_88_tpt_88_sp_op_CI_CI_sbrr_dirReg
		.amdhsa_group_segment_fixed_size 0
		.amdhsa_private_segment_fixed_size 0
		.amdhsa_kernarg_size 104
		.amdhsa_user_sgpr_count 6
		.amdhsa_user_sgpr_private_segment_buffer 1
		.amdhsa_user_sgpr_dispatch_ptr 0
		.amdhsa_user_sgpr_queue_ptr 0
		.amdhsa_user_sgpr_kernarg_segment_ptr 1
		.amdhsa_user_sgpr_dispatch_id 0
		.amdhsa_user_sgpr_flat_scratch_init 0
		.amdhsa_user_sgpr_private_segment_size 0
		.amdhsa_wavefront_size32 1
		.amdhsa_uses_dynamic_stack 0
		.amdhsa_system_sgpr_private_segment_wavefront_offset 0
		.amdhsa_system_sgpr_workgroup_id_x 1
		.amdhsa_system_sgpr_workgroup_id_y 0
		.amdhsa_system_sgpr_workgroup_id_z 0
		.amdhsa_system_sgpr_workgroup_info 0
		.amdhsa_system_vgpr_workitem_id 0
		.amdhsa_next_free_vgpr 73
		.amdhsa_next_free_sgpr 31
		.amdhsa_reserve_vcc 1
		.amdhsa_reserve_flat_scratch 0
		.amdhsa_float_round_mode_32 0
		.amdhsa_float_round_mode_16_64 0
		.amdhsa_float_denorm_mode_32 3
		.amdhsa_float_denorm_mode_16_64 3
		.amdhsa_dx10_clamp 1
		.amdhsa_ieee_mode 1
		.amdhsa_fp16_overflow 0
		.amdhsa_workgroup_processor_mode 1
		.amdhsa_memory_ordered 1
		.amdhsa_forward_progress 0
		.amdhsa_shared_vgpr_count 0
		.amdhsa_exception_fp_ieee_invalid_op 0
		.amdhsa_exception_fp_denorm_src 0
		.amdhsa_exception_fp_ieee_div_zero 0
		.amdhsa_exception_fp_ieee_overflow 0
		.amdhsa_exception_fp_ieee_underflow 0
		.amdhsa_exception_fp_ieee_inexact 0
		.amdhsa_exception_int_div_zero 0
	.end_amdhsa_kernel
	.text
.Lfunc_end0:
	.size	fft_rtc_fwd_len616_factors_11_7_8_wgs_88_tpt_88_sp_op_CI_CI_sbrr_dirReg, .Lfunc_end0-fft_rtc_fwd_len616_factors_11_7_8_wgs_88_tpt_88_sp_op_CI_CI_sbrr_dirReg
                                        ; -- End function
	.section	.AMDGPU.csdata,"",@progbits
; Kernel info:
; codeLenInByte = 6060
; NumSgprs: 33
; NumVgprs: 73
; ScratchSize: 0
; MemoryBound: 0
; FloatMode: 240
; IeeeMode: 1
; LDSByteSize: 0 bytes/workgroup (compile time only)
; SGPRBlocks: 4
; VGPRBlocks: 9
; NumSGPRsForWavesPerEU: 33
; NumVGPRsForWavesPerEU: 73
; Occupancy: 12
; WaveLimiterHint : 1
; COMPUTE_PGM_RSRC2:SCRATCH_EN: 0
; COMPUTE_PGM_RSRC2:USER_SGPR: 6
; COMPUTE_PGM_RSRC2:TRAP_HANDLER: 0
; COMPUTE_PGM_RSRC2:TGID_X_EN: 1
; COMPUTE_PGM_RSRC2:TGID_Y_EN: 0
; COMPUTE_PGM_RSRC2:TGID_Z_EN: 0
; COMPUTE_PGM_RSRC2:TIDIG_COMP_CNT: 0
	.text
	.p2alignl 6, 3214868480
	.fill 48, 4, 3214868480
	.type	__hip_cuid_6128c451b17d7533,@object ; @__hip_cuid_6128c451b17d7533
	.section	.bss,"aw",@nobits
	.globl	__hip_cuid_6128c451b17d7533
__hip_cuid_6128c451b17d7533:
	.byte	0                               ; 0x0
	.size	__hip_cuid_6128c451b17d7533, 1

	.ident	"AMD clang version 19.0.0git (https://github.com/RadeonOpenCompute/llvm-project roc-6.4.0 25133 c7fe45cf4b819c5991fe208aaa96edf142730f1d)"
	.section	".note.GNU-stack","",@progbits
	.addrsig
	.addrsig_sym __hip_cuid_6128c451b17d7533
	.amdgpu_metadata
---
amdhsa.kernels:
  - .args:
      - .actual_access:  read_only
        .address_space:  global
        .offset:         0
        .size:           8
        .value_kind:     global_buffer
      - .offset:         8
        .size:           8
        .value_kind:     by_value
      - .actual_access:  read_only
        .address_space:  global
        .offset:         16
        .size:           8
        .value_kind:     global_buffer
      - .actual_access:  read_only
        .address_space:  global
        .offset:         24
        .size:           8
        .value_kind:     global_buffer
      - .actual_access:  read_only
        .address_space:  global
        .offset:         32
        .size:           8
        .value_kind:     global_buffer
      - .offset:         40
        .size:           8
        .value_kind:     by_value
      - .actual_access:  read_only
        .address_space:  global
        .offset:         48
        .size:           8
        .value_kind:     global_buffer
      - .actual_access:  read_only
        .address_space:  global
        .offset:         56
        .size:           8
        .value_kind:     global_buffer
      - .offset:         64
        .size:           4
        .value_kind:     by_value
      - .actual_access:  read_only
        .address_space:  global
        .offset:         72
        .size:           8
        .value_kind:     global_buffer
      - .actual_access:  read_only
        .address_space:  global
        .offset:         80
        .size:           8
        .value_kind:     global_buffer
      - .actual_access:  read_only
        .address_space:  global
        .offset:         88
        .size:           8
        .value_kind:     global_buffer
      - .actual_access:  write_only
        .address_space:  global
        .offset:         96
        .size:           8
        .value_kind:     global_buffer
    .group_segment_fixed_size: 0
    .kernarg_segment_align: 8
    .kernarg_segment_size: 104
    .language:       OpenCL C
    .language_version:
      - 2
      - 0
    .max_flat_workgroup_size: 88
    .name:           fft_rtc_fwd_len616_factors_11_7_8_wgs_88_tpt_88_sp_op_CI_CI_sbrr_dirReg
    .private_segment_fixed_size: 0
    .sgpr_count:     33
    .sgpr_spill_count: 0
    .symbol:         fft_rtc_fwd_len616_factors_11_7_8_wgs_88_tpt_88_sp_op_CI_CI_sbrr_dirReg.kd
    .uniform_work_group_size: 1
    .uses_dynamic_stack: false
    .vgpr_count:     73
    .vgpr_spill_count: 0
    .wavefront_size: 32
    .workgroup_processor_mode: 1
amdhsa.target:   amdgcn-amd-amdhsa--gfx1030
amdhsa.version:
  - 1
  - 2
...

	.end_amdgpu_metadata
